;; amdgpu-corpus repo=ROCm/rocFFT kind=compiled arch=gfx906 opt=O3
	.text
	.amdgcn_target "amdgcn-amd-amdhsa--gfx906"
	.amdhsa_code_object_version 6
	.protected	fft_rtc_back_len343_factors_7_7_7_wgs_245_tpt_49_halfLds_dp_ip_CI_sbrr_dirReg ; -- Begin function fft_rtc_back_len343_factors_7_7_7_wgs_245_tpt_49_halfLds_dp_ip_CI_sbrr_dirReg
	.globl	fft_rtc_back_len343_factors_7_7_7_wgs_245_tpt_49_halfLds_dp_ip_CI_sbrr_dirReg
	.p2align	8
	.type	fft_rtc_back_len343_factors_7_7_7_wgs_245_tpt_49_halfLds_dp_ip_CI_sbrr_dirReg,@function
fft_rtc_back_len343_factors_7_7_7_wgs_245_tpt_49_halfLds_dp_ip_CI_sbrr_dirReg: ; @fft_rtc_back_len343_factors_7_7_7_wgs_245_tpt_49_halfLds_dp_ip_CI_sbrr_dirReg
; %bb.0:
	s_load_dwordx2 s[14:15], s[4:5], 0x18
	s_load_dwordx4 s[8:11], s[4:5], 0x0
	s_load_dwordx2 s[12:13], s[4:5], 0x50
	v_mul_u32_u24_e32 v1, 0x53a, v0
	v_lshrrev_b32_e32 v1, 16, v1
	v_mad_u64_u32 v[30:31], s[0:1], s6, 5, v[1:2]
	s_waitcnt lgkmcnt(0)
	s_load_dwordx2 s[2:3], s[14:15], 0x0
	v_mov_b32_e32 v3, 0
	v_cmp_lt_u64_e64 s[0:1], s[10:11], 2
	v_mov_b32_e32 v31, v3
	v_mov_b32_e32 v1, 0
	;; [unrolled: 1-line block ×3, first 2 shown]
	s_and_b64 vcc, exec, s[0:1]
	v_mov_b32_e32 v2, 0
	v_mov_b32_e32 v8, v31
	s_cbranch_vccnz .LBB0_8
; %bb.1:
	s_load_dwordx2 s[0:1], s[4:5], 0x10
	s_add_u32 s6, s14, 8
	s_addc_u32 s7, s15, 0
	v_mov_b32_e32 v1, 0
	v_mov_b32_e32 v5, v30
	s_waitcnt lgkmcnt(0)
	s_add_u32 s18, s0, 8
	s_mov_b64 s[16:17], 1
	v_mov_b32_e32 v2, 0
	s_addc_u32 s19, s1, 0
	v_mov_b32_e32 v6, v31
.LBB0_2:                                ; =>This Inner Loop Header: Depth=1
	s_load_dwordx2 s[20:21], s[18:19], 0x0
                                        ; implicit-def: $vgpr7_vgpr8
	s_waitcnt lgkmcnt(0)
	v_or_b32_e32 v4, s21, v6
	v_cmp_ne_u64_e32 vcc, 0, v[3:4]
	s_and_saveexec_b64 s[0:1], vcc
	s_xor_b64 s[22:23], exec, s[0:1]
	s_cbranch_execz .LBB0_4
; %bb.3:                                ;   in Loop: Header=BB0_2 Depth=1
	v_cvt_f32_u32_e32 v4, s20
	v_cvt_f32_u32_e32 v7, s21
	s_sub_u32 s0, 0, s20
	s_subb_u32 s1, 0, s21
	v_mac_f32_e32 v4, 0x4f800000, v7
	v_rcp_f32_e32 v4, v4
	v_mul_f32_e32 v4, 0x5f7ffffc, v4
	v_mul_f32_e32 v7, 0x2f800000, v4
	v_trunc_f32_e32 v7, v7
	v_mac_f32_e32 v4, 0xcf800000, v7
	v_cvt_u32_f32_e32 v7, v7
	v_cvt_u32_f32_e32 v4, v4
	v_mul_lo_u32 v8, s0, v7
	v_mul_hi_u32 v9, s0, v4
	v_mul_lo_u32 v11, s1, v4
	v_mul_lo_u32 v10, s0, v4
	v_add_u32_e32 v8, v9, v8
	v_add_u32_e32 v8, v8, v11
	v_mul_hi_u32 v9, v4, v10
	v_mul_lo_u32 v11, v4, v8
	v_mul_hi_u32 v13, v4, v8
	v_mul_hi_u32 v12, v7, v10
	v_mul_lo_u32 v10, v7, v10
	v_mul_hi_u32 v14, v7, v8
	v_add_co_u32_e32 v9, vcc, v9, v11
	v_addc_co_u32_e32 v11, vcc, 0, v13, vcc
	v_mul_lo_u32 v8, v7, v8
	v_add_co_u32_e32 v9, vcc, v9, v10
	v_addc_co_u32_e32 v9, vcc, v11, v12, vcc
	v_addc_co_u32_e32 v10, vcc, 0, v14, vcc
	v_add_co_u32_e32 v8, vcc, v9, v8
	v_addc_co_u32_e32 v9, vcc, 0, v10, vcc
	v_add_co_u32_e32 v4, vcc, v4, v8
	v_addc_co_u32_e32 v7, vcc, v7, v9, vcc
	v_mul_lo_u32 v8, s0, v7
	v_mul_hi_u32 v9, s0, v4
	v_mul_lo_u32 v10, s1, v4
	v_mul_lo_u32 v11, s0, v4
	v_add_u32_e32 v8, v9, v8
	v_add_u32_e32 v8, v8, v10
	v_mul_lo_u32 v12, v4, v8
	v_mul_hi_u32 v13, v4, v11
	v_mul_hi_u32 v14, v4, v8
	;; [unrolled: 1-line block ×3, first 2 shown]
	v_mul_lo_u32 v11, v7, v11
	v_mul_hi_u32 v9, v7, v8
	v_add_co_u32_e32 v12, vcc, v13, v12
	v_addc_co_u32_e32 v13, vcc, 0, v14, vcc
	v_mul_lo_u32 v8, v7, v8
	v_add_co_u32_e32 v11, vcc, v12, v11
	v_addc_co_u32_e32 v10, vcc, v13, v10, vcc
	v_addc_co_u32_e32 v9, vcc, 0, v9, vcc
	v_add_co_u32_e32 v8, vcc, v10, v8
	v_addc_co_u32_e32 v9, vcc, 0, v9, vcc
	v_add_co_u32_e32 v4, vcc, v4, v8
	v_addc_co_u32_e32 v9, vcc, v7, v9, vcc
	v_mad_u64_u32 v[7:8], s[0:1], v5, v9, 0
	v_mul_hi_u32 v10, v5, v4
	v_add_co_u32_e32 v11, vcc, v10, v7
	v_addc_co_u32_e32 v12, vcc, 0, v8, vcc
	v_mad_u64_u32 v[7:8], s[0:1], v6, v4, 0
	v_mad_u64_u32 v[9:10], s[0:1], v6, v9, 0
	v_add_co_u32_e32 v4, vcc, v11, v7
	v_addc_co_u32_e32 v4, vcc, v12, v8, vcc
	v_addc_co_u32_e32 v7, vcc, 0, v10, vcc
	v_add_co_u32_e32 v4, vcc, v4, v9
	v_addc_co_u32_e32 v9, vcc, 0, v7, vcc
	v_mul_lo_u32 v10, s21, v4
	v_mul_lo_u32 v11, s20, v9
	v_mad_u64_u32 v[7:8], s[0:1], s20, v4, 0
	v_add3_u32 v8, v8, v11, v10
	v_sub_u32_e32 v10, v6, v8
	v_mov_b32_e32 v11, s21
	v_sub_co_u32_e32 v7, vcc, v5, v7
	v_subb_co_u32_e64 v10, s[0:1], v10, v11, vcc
	v_subrev_co_u32_e64 v11, s[0:1], s20, v7
	v_subbrev_co_u32_e64 v10, s[0:1], 0, v10, s[0:1]
	v_cmp_le_u32_e64 s[0:1], s21, v10
	v_cndmask_b32_e64 v12, 0, -1, s[0:1]
	v_cmp_le_u32_e64 s[0:1], s20, v11
	v_cndmask_b32_e64 v11, 0, -1, s[0:1]
	v_cmp_eq_u32_e64 s[0:1], s21, v10
	v_cndmask_b32_e64 v10, v12, v11, s[0:1]
	v_add_co_u32_e64 v11, s[0:1], 2, v4
	v_addc_co_u32_e64 v12, s[0:1], 0, v9, s[0:1]
	v_add_co_u32_e64 v13, s[0:1], 1, v4
	v_addc_co_u32_e64 v14, s[0:1], 0, v9, s[0:1]
	v_subb_co_u32_e32 v8, vcc, v6, v8, vcc
	v_cmp_ne_u32_e64 s[0:1], 0, v10
	v_cmp_le_u32_e32 vcc, s21, v8
	v_cndmask_b32_e64 v10, v14, v12, s[0:1]
	v_cndmask_b32_e64 v12, 0, -1, vcc
	v_cmp_le_u32_e32 vcc, s20, v7
	v_cndmask_b32_e64 v7, 0, -1, vcc
	v_cmp_eq_u32_e32 vcc, s21, v8
	v_cndmask_b32_e32 v7, v12, v7, vcc
	v_cmp_ne_u32_e32 vcc, 0, v7
	v_cndmask_b32_e64 v7, v13, v11, s[0:1]
	v_cndmask_b32_e32 v8, v9, v10, vcc
	v_cndmask_b32_e32 v7, v4, v7, vcc
.LBB0_4:                                ;   in Loop: Header=BB0_2 Depth=1
	s_andn2_saveexec_b64 s[0:1], s[22:23]
	s_cbranch_execz .LBB0_6
; %bb.5:                                ;   in Loop: Header=BB0_2 Depth=1
	v_cvt_f32_u32_e32 v4, s20
	s_sub_i32 s22, 0, s20
	v_rcp_iflag_f32_e32 v4, v4
	v_mul_f32_e32 v4, 0x4f7ffffe, v4
	v_cvt_u32_f32_e32 v4, v4
	v_mul_lo_u32 v7, s22, v4
	v_mul_hi_u32 v7, v4, v7
	v_add_u32_e32 v4, v4, v7
	v_mul_hi_u32 v4, v5, v4
	v_mul_lo_u32 v7, v4, s20
	v_add_u32_e32 v8, 1, v4
	v_sub_u32_e32 v7, v5, v7
	v_subrev_u32_e32 v9, s20, v7
	v_cmp_le_u32_e32 vcc, s20, v7
	v_cndmask_b32_e32 v7, v7, v9, vcc
	v_cndmask_b32_e32 v4, v4, v8, vcc
	v_add_u32_e32 v8, 1, v4
	v_cmp_le_u32_e32 vcc, s20, v7
	v_cndmask_b32_e32 v7, v4, v8, vcc
	v_mov_b32_e32 v8, v3
.LBB0_6:                                ;   in Loop: Header=BB0_2 Depth=1
	s_or_b64 exec, exec, s[0:1]
	v_mul_lo_u32 v4, v8, s20
	v_mul_lo_u32 v11, v7, s21
	v_mad_u64_u32 v[9:10], s[0:1], v7, s20, 0
	s_load_dwordx2 s[0:1], s[6:7], 0x0
	s_add_u32 s16, s16, 1
	v_add3_u32 v4, v10, v11, v4
	v_sub_co_u32_e32 v5, vcc, v5, v9
	v_subb_co_u32_e32 v4, vcc, v6, v4, vcc
	s_waitcnt lgkmcnt(0)
	v_mul_lo_u32 v4, s0, v4
	v_mul_lo_u32 v6, s1, v5
	v_mad_u64_u32 v[1:2], s[0:1], s0, v5, v[1:2]
	s_addc_u32 s17, s17, 0
	s_add_u32 s6, s6, 8
	v_add3_u32 v2, v6, v2, v4
	v_mov_b32_e32 v4, s10
	v_mov_b32_e32 v5, s11
	s_addc_u32 s7, s7, 0
	v_cmp_ge_u64_e32 vcc, s[16:17], v[4:5]
	s_add_u32 s18, s18, 8
	s_addc_u32 s19, s19, 0
	s_cbranch_vccnz .LBB0_8
; %bb.7:                                ;   in Loop: Header=BB0_2 Depth=1
	v_mov_b32_e32 v5, v7
	v_mov_b32_e32 v6, v8
	s_branch .LBB0_2
.LBB0_8:
	s_lshl_b64 s[0:1], s[10:11], 3
	s_add_u32 s0, s14, s0
	s_addc_u32 s1, s15, s1
	s_load_dwordx2 s[6:7], s[0:1], 0x0
	s_load_dwordx2 s[10:11], s[4:5], 0x20
	v_mov_b32_e32 v31, 0
                                        ; implicit-def: $vgpr22_vgpr23
                                        ; implicit-def: $vgpr14_vgpr15
                                        ; implicit-def: $vgpr10_vgpr11
                                        ; implicit-def: $vgpr18_vgpr19
                                        ; implicit-def: $vgpr26_vgpr27
	s_waitcnt lgkmcnt(0)
	v_mad_u64_u32 v[1:2], s[0:1], s6, v7, v[1:2]
	v_mul_lo_u32 v3, s6, v8
	v_mul_lo_u32 v4, s7, v7
	s_mov_b32 s0, 0x539782a
	v_mul_hi_u32 v5, v0, s0
	v_cmp_gt_u64_e32 vcc, s[10:11], v[7:8]
	v_add3_u32 v2, v4, v2, v3
	v_lshlrev_b64 v[28:29], 4, v[1:2]
	v_mul_u32_u24_e32 v3, 49, v5
	v_sub_u32_e32 v32, v0, v3
                                        ; implicit-def: $vgpr6_vgpr7
                                        ; implicit-def: $vgpr2_vgpr3
	s_and_saveexec_b64 s[4:5], vcc
	s_cbranch_execz .LBB0_10
; %bb.9:
	v_mad_u64_u32 v[0:1], s[0:1], s2, v32, 0
	v_add_u32_e32 v5, 49, v32
	v_mov_b32_e32 v4, s13
	v_mad_u64_u32 v[1:2], s[0:1], s3, v32, v[1:2]
	v_mad_u64_u32 v[2:3], s[0:1], s2, v5, 0
	v_add_co_u32_e64 v8, s[0:1], s12, v28
	v_addc_co_u32_e64 v9, s[0:1], v4, v29, s[0:1]
	v_mad_u64_u32 v[3:4], s[0:1], s3, v5, v[3:4]
	v_add_u32_e32 v6, 0x62, v32
	v_mad_u64_u32 v[4:5], s[0:1], s2, v6, 0
	v_lshlrev_b64 v[0:1], 4, v[0:1]
	v_mov_b32_e32 v31, v32
	v_add_co_u32_e64 v33, s[0:1], v8, v0
	v_addc_co_u32_e64 v34, s[0:1], v9, v1, s[0:1]
	v_lshlrev_b64 v[0:1], 4, v[2:3]
	v_mov_b32_e32 v2, v5
	v_mad_u64_u32 v[2:3], s[0:1], s3, v6, v[2:3]
	v_add_u32_e32 v3, 0x93, v32
	v_mad_u64_u32 v[6:7], s[0:1], s2, v3, 0
	v_add_co_u32_e64 v35, s[0:1], v8, v0
	v_mov_b32_e32 v5, v2
	v_mov_b32_e32 v2, v7
	v_addc_co_u32_e64 v36, s[0:1], v9, v1, s[0:1]
	v_lshlrev_b64 v[0:1], 4, v[4:5]
	v_mad_u64_u32 v[2:3], s[0:1], s3, v3, v[2:3]
	v_add_u32_e32 v5, 0xc4, v32
	v_mad_u64_u32 v[3:4], s[0:1], s2, v5, 0
	v_add_co_u32_e64 v37, s[0:1], v8, v0
	v_mov_b32_e32 v7, v2
	v_mov_b32_e32 v2, v4
	v_addc_co_u32_e64 v38, s[0:1], v9, v1, s[0:1]
	v_lshlrev_b64 v[0:1], 4, v[6:7]
	v_mad_u64_u32 v[4:5], s[0:1], s3, v5, v[2:3]
	v_add_u32_e32 v7, 0xf5, v32
	v_mad_u64_u32 v[5:6], s[0:1], s2, v7, 0
	v_add_co_u32_e64 v39, s[0:1], v8, v0
	v_mov_b32_e32 v2, v6
	v_addc_co_u32_e64 v40, s[0:1], v9, v1, s[0:1]
	v_lshlrev_b64 v[0:1], 4, v[3:4]
	v_mad_u64_u32 v[2:3], s[0:1], s3, v7, v[2:3]
	v_add_u32_e32 v7, 0x126, v32
	v_mad_u64_u32 v[3:4], s[0:1], s2, v7, 0
	v_add_co_u32_e64 v41, s[0:1], v8, v0
	v_mov_b32_e32 v6, v2
	v_mov_b32_e32 v2, v4
	v_addc_co_u32_e64 v42, s[0:1], v9, v1, s[0:1]
	v_lshlrev_b64 v[0:1], 4, v[5:6]
	v_mad_u64_u32 v[4:5], s[0:1], s3, v7, v[2:3]
	v_add_co_u32_e64 v43, s[0:1], v8, v0
	v_addc_co_u32_e64 v44, s[0:1], v9, v1, s[0:1]
	v_lshlrev_b64 v[0:1], 4, v[3:4]
	v_add_co_u32_e64 v45, s[0:1], v8, v0
	v_addc_co_u32_e64 v46, s[0:1], v9, v1, s[0:1]
	global_load_dwordx4 v[0:3], v[33:34], off
	global_load_dwordx4 v[24:27], v[35:36], off
	;; [unrolled: 1-line block ×7, first 2 shown]
.LBB0_10:
	s_or_b64 exec, exec, s[4:5]
	s_waitcnt vmcnt(0)
	v_add_f64 v[33:34], v[20:21], v[24:25]
	v_add_f64 v[35:36], v[12:13], v[16:17]
	;; [unrolled: 1-line block ×4, first 2 shown]
	v_add_f64 v[20:21], v[24:25], -v[20:21]
	v_add_f64 v[24:25], v[18:19], -v[14:15]
	;; [unrolled: 1-line block ×5, first 2 shown]
	v_add_f64 v[26:27], v[35:36], v[33:34]
	v_add_f64 v[6:7], v[6:7], v[10:11]
	v_add_f64 v[10:11], v[33:34], -v[41:42]
	v_add_f64 v[16:17], v[41:42], -v[35:36]
	s_mov_b32 s10, 0x37e14327
	s_mov_b32 s4, 0x36b3c0b5
	;; [unrolled: 1-line block ×4, first 2 shown]
	v_add_f64 v[14:15], v[14:15], v[18:19]
	v_add_f64 v[4:5], v[4:5], -v[8:9]
	v_add_f64 v[8:9], v[39:40], v[24:25]
	v_add_f64 v[18:19], v[41:42], v[26:27]
	v_add_f64 v[26:27], v[35:36], -v[33:34]
	v_add_f64 v[33:34], v[39:40], -v[24:25]
	v_add_f64 v[35:36], v[22:23], -v[39:40]
	v_mul_f64 v[10:11], v[10:11], s[10:11]
	v_mul_f64 v[39:40], v[16:17], s[4:5]
	s_mov_b32 s14, 0xe976ee23
	s_mov_b32 s0, 0x5476071b
	;; [unrolled: 1-line block ×6, first 2 shown]
	v_add_f64 v[8:9], v[8:9], v[22:23]
	v_add_f64 v[22:23], v[24:25], -v[22:23]
	v_fma_f64 v[16:17], v[16:17], s[4:5], v[10:11]
	v_fma_f64 v[24:25], v[26:27], s[0:1], -v[39:40]
	v_add_f64 v[0:1], v[0:1], v[18:19]
	v_fma_f64 v[10:11], v[26:27], s[6:7], -v[10:11]
	v_mul_f64 v[26:27], v[33:34], s[14:15]
	s_mov_b32 s18, 0x429ad128
	s_mov_b32 s20, 0xaaaaaaaa
	;; [unrolled: 1-line block ×6, first 2 shown]
	v_mul_f64 v[33:34], v[22:23], s[18:19]
	v_fma_f64 v[18:19], v[18:19], s[20:21], v[0:1]
	v_fma_f64 v[39:40], v[35:36], s[24:25], v[26:27]
	s_mov_b32 s16, 0x37c3f68c
	s_mov_b32 s23, 0x3fd5d0dc
	;; [unrolled: 1-line block ×4, first 2 shown]
	v_fma_f64 v[22:23], v[22:23], s[18:19], -v[26:27]
	v_fma_f64 v[33:34], v[35:36], s[22:23], -v[33:34]
	v_add_f64 v[16:17], v[16:17], v[18:19]
	v_fma_f64 v[26:27], v[8:9], s[16:17], v[39:40]
	v_add_f64 v[24:25], v[24:25], v[18:19]
	v_add_f64 v[10:11], v[10:11], v[18:19]
	;; [unrolled: 1-line block ×3, first 2 shown]
	s_mov_b32 s26, 0xcccccccd
	v_mul_hi_u32 v35, v30, s26
	v_fma_f64 v[33:34], v[8:9], s[16:17], v[33:34]
	v_fma_f64 v[8:9], v[8:9], s[16:17], v[22:23]
	v_add_f64 v[22:23], v[26:27], v[16:17]
	v_lshrrev_b32_e32 v35, 2, v35
	v_lshl_add_u32 v35, v35, 2, v35
	v_sub_u32_e32 v30, v30, v35
	v_add_f64 v[18:19], v[6:7], v[18:19]
	v_add_f64 v[35:36], v[37:38], -v[6:7]
	v_mul_u32_u24_e32 v30, 0x157, v30
	v_lshlrev_b32_e32 v30, 3, v30
	v_add_u32_e32 v43, 0, v30
	v_mad_u32_u24 v44, v32, 56, v43
	v_add_f64 v[39:40], v[4:5], -v[12:13]
	ds_write2_b64 v44, v[0:1], v[22:23] offset1:1
	v_add_f64 v[0:1], v[33:34], v[10:11]
	v_add_f64 v[22:23], v[2:3], v[18:19]
	v_add_f64 v[2:3], v[4:5], v[12:13]
	v_add_f64 v[6:7], v[6:7], -v[14:15]
	v_mul_f64 v[35:36], v[35:36], s[10:11]
	v_add_f64 v[41:42], v[24:25], -v[8:9]
	v_add_f64 v[8:9], v[8:9], v[24:25]
	v_add_f64 v[10:11], v[10:11], -v[33:34]
	v_add_f64 v[12:13], v[12:13], -v[20:21]
	;; [unrolled: 1-line block ×3, first 2 shown]
	v_mul_f64 v[39:40], v[39:40], s[14:15]
	v_add_f64 v[2:3], v[2:3], v[20:21]
	v_fma_f64 v[24:25], v[6:7], s[4:5], v[35:36]
	ds_write2_b64 v44, v[0:1], v[41:42] offset0:2 offset1:3
	v_add_f64 v[0:1], v[14:15], -v[37:38]
	v_mul_f64 v[6:7], v[6:7], s[4:5]
	ds_write2_b64 v44, v[8:9], v[10:11] offset0:4 offset1:5
	v_mul_f64 v[10:11], v[12:13], s[18:19]
	v_fma_f64 v[18:19], v[18:19], s[20:21], v[22:23]
	v_fma_f64 v[20:21], v[4:5], s[24:25], v[39:40]
	v_add_f64 v[16:17], v[16:17], -v[26:27]
	v_fma_f64 v[12:13], v[12:13], s[18:19], -v[39:40]
	s_movk_i32 s26, 0xffd0
	v_fma_f64 v[6:7], v[0:1], s[0:1], -v[6:7]
	v_fma_f64 v[0:1], v[0:1], s[6:7], -v[35:36]
	;; [unrolled: 1-line block ×3, first 2 shown]
	v_add_f64 v[8:9], v[24:25], v[18:19]
	v_fma_f64 v[20:21], v[2:3], s[16:17], v[20:21]
	ds_write_b64 v44, v[16:17] offset:48
	v_fma_f64 v[12:13], v[2:3], s[16:17], v[12:13]
	v_mad_i32_i24 v15, v32, s26, v44
	v_add_f64 v[10:11], v[6:7], v[18:19]
	v_add_f64 v[17:18], v[0:1], v[18:19]
	v_fma_f64 v[24:25], v[2:3], s[16:17], v[4:5]
	v_lshl_add_u32 v14, v32, 3, v43
	v_add_f64 v[33:34], v[8:9], -v[20:21]
	v_add_f64 v[19:20], v[20:21], v[8:9]
	v_add_u32_e32 v16, 0x400, v15
	s_waitcnt lgkmcnt(0)
	v_add_f64 v[35:36], v[12:13], v[10:11]
	v_add_f64 v[12:13], v[10:11], -v[12:13]
	v_add_f64 v[37:38], v[17:18], -v[24:25]
	v_add_f64 v[17:18], v[24:25], v[17:18]
	s_barrier
	ds_read_b64 v[26:27], v14
	ds_read2_b64 v[0:3], v15 offset0:49 offset1:98
	ds_read2_b64 v[4:7], v15 offset0:147 offset1:196
	;; [unrolled: 1-line block ×3, first 2 shown]
	s_waitcnt lgkmcnt(0)
	s_barrier
	ds_write2_b64 v44, v[22:23], v[33:34] offset1:1
	ds_write2_b64 v44, v[37:38], v[35:36] offset0:2 offset1:3
	ds_write2_b64 v44, v[12:13], v[17:18] offset0:4 offset1:5
	ds_write_b64 v44, v[19:20] offset:48
	v_mov_b32_e32 v12, 37
	v_mul_lo_u16_sdwa v12, v32, v12 dst_sel:DWORD dst_unused:UNUSED_PAD src0_sel:BYTE_0 src1_sel:DWORD
	v_sub_u16_sdwa v13, v32, v12 dst_sel:DWORD dst_unused:UNUSED_PAD src0_sel:DWORD src1_sel:BYTE_1
	v_lshrrev_b16_e32 v13, 1, v13
	v_and_b32_e32 v13, 0x7f, v13
	v_add_u16_sdwa v12, v13, v12 dst_sel:DWORD dst_unused:UNUSED_PAD src0_sel:DWORD src1_sel:BYTE_1
	v_lshrrev_b16_e32 v59, 2, v12
	v_mul_lo_u16_e32 v12, 7, v59
	v_sub_u16_e32 v60, v32, v12
	v_mov_b32_e32 v12, 6
	v_mul_u32_u24_sdwa v12, v60, v12 dst_sel:DWORD dst_unused:UNUSED_PAD src0_sel:BYTE_0 src1_sel:DWORD
	v_lshlrev_b32_e32 v12, 4, v12
	s_waitcnt lgkmcnt(0)
	s_barrier
	global_load_dwordx4 v[17:20], v12, s[8:9] offset:32
	global_load_dwordx4 v[21:24], v12, s[8:9] offset:48
	global_load_dwordx4 v[33:36], v12, s[8:9]
	global_load_dwordx4 v[37:40], v12, s[8:9] offset:16
	global_load_dwordx4 v[41:44], v12, s[8:9] offset:80
	;; [unrolled: 1-line block ×3, first 2 shown]
	ds_read2_b64 v[49:52], v15 offset0:147 offset1:196
	s_movk_i32 s26, 0x188
	s_waitcnt vmcnt(5) lgkmcnt(0)
	v_mul_f64 v[12:13], v[49:50], v[19:20]
	v_mul_f64 v[19:20], v[4:5], v[19:20]
	s_waitcnt vmcnt(4)
	v_mul_f64 v[53:54], v[51:52], v[23:24]
	v_mul_f64 v[23:24], v[6:7], v[23:24]
	v_fma_f64 v[12:13], v[4:5], v[17:18], v[12:13]
	v_fma_f64 v[49:50], v[49:50], v[17:18], -v[19:20]
	ds_read2_b64 v[17:20], v15 offset0:49 offset1:98
	v_fma_f64 v[53:54], v[6:7], v[21:22], v[53:54]
	ds_read2_b64 v[4:7], v16 offset0:117 offset1:166
	v_fma_f64 v[21:22], v[51:52], v[21:22], -v[23:24]
	s_waitcnt vmcnt(3) lgkmcnt(1)
	v_mul_f64 v[55:56], v[17:18], v[35:36]
	s_waitcnt vmcnt(2)
	v_mul_f64 v[23:24], v[19:20], v[39:40]
	s_waitcnt vmcnt(1) lgkmcnt(0)
	v_mul_f64 v[51:52], v[6:7], v[43:44]
	s_waitcnt vmcnt(0)
	v_mul_f64 v[57:58], v[4:5], v[47:48]
	v_fma_f64 v[55:56], v[0:1], v[33:34], v[55:56]
	v_fma_f64 v[23:24], v[2:3], v[37:38], v[23:24]
	v_mul_f64 v[2:3], v[2:3], v[39:40]
	v_fma_f64 v[39:40], v[10:11], v[41:42], v[51:52]
	v_fma_f64 v[51:52], v[8:9], v[45:46], v[57:58]
	v_mul_f64 v[8:9], v[8:9], v[47:48]
	v_mul_f64 v[0:1], v[0:1], v[35:36]
	;; [unrolled: 1-line block ×3, first 2 shown]
	v_fma_f64 v[2:3], v[19:20], v[37:38], -v[2:3]
	v_add_f64 v[19:20], v[55:56], v[39:40]
	v_add_f64 v[35:36], v[23:24], v[51:52]
	v_fma_f64 v[4:5], v[4:5], v[45:46], -v[8:9]
	v_fma_f64 v[0:1], v[17:18], v[33:34], -v[0:1]
	v_fma_f64 v[6:7], v[6:7], v[41:42], -v[10:11]
	v_add_f64 v[8:9], v[12:13], v[53:54]
	v_add_f64 v[33:34], v[21:22], -v[49:50]
	v_add_f64 v[21:22], v[49:50], v[21:22]
	v_add_f64 v[23:24], v[23:24], -v[51:52]
	;; [unrolled: 2-line block ×4, first 2 shown]
	v_add_f64 v[41:42], v[19:20], -v[8:9]
	v_add_f64 v[19:20], v[35:36], -v[19:20]
	v_add_f64 v[0:1], v[0:1], v[6:7]
	v_add_f64 v[12:13], v[53:54], -v[12:13]
	v_add_f64 v[17:18], v[8:9], v[17:18]
	v_add_f64 v[43:44], v[33:34], -v[10:11]
	v_add_f64 v[8:9], v[8:9], -v[35:36]
	;; [unrolled: 1-line block ×3, first 2 shown]
	v_mul_f64 v[41:42], v[41:42], s[10:11]
	v_add_f64 v[10:11], v[33:34], v[10:11]
	v_add_f64 v[33:34], v[37:38], -v[33:34]
	ds_read_b64 v[4:5], v14
	v_add_f64 v[25:26], v[26:27], v[17:18]
	v_mul_f64 v[43:44], v[43:44], s[14:15]
	v_mul_f64 v[35:36], v[8:9], s[4:5]
	v_mul_f64 v[47:48], v[45:46], s[18:19]
	v_fma_f64 v[8:9], v[8:9], s[4:5], v[41:42]
	v_add_f64 v[10:11], v[10:11], v[37:38]
	v_mov_b32_e32 v27, 3
	v_lshlrev_b32_sdwa v27, v27, v60 dst_sel:DWORD dst_unused:UNUSED_PAD src0_sel:DWORD src1_sel:BYTE_0
	v_fma_f64 v[17:18], v[17:18], s[20:21], v[25:26]
	v_fma_f64 v[37:38], v[33:34], s[24:25], v[43:44]
	v_fma_f64 v[35:36], v[19:20], s[0:1], -v[35:36]
	v_fma_f64 v[19:20], v[19:20], s[6:7], -v[41:42]
	;; [unrolled: 1-line block ×4, first 2 shown]
	v_mad_u32_u24 v43, v59, s26, 0
	v_add3_u32 v27, v43, v27, v30
	v_add_f64 v[8:9], v[8:9], v[17:18]
	v_fma_f64 v[37:38], v[10:11], s[16:17], v[37:38]
	v_add_f64 v[35:36], v[35:36], v[17:18]
	v_add_f64 v[17:18], v[19:20], v[17:18]
	v_fma_f64 v[19:20], v[10:11], s[16:17], v[33:34]
	v_fma_f64 v[10:11], v[10:11], s[16:17], v[41:42]
	v_add_f64 v[43:44], v[2:3], v[0:1]
	s_waitcnt lgkmcnt(0)
	s_barrier
	v_add_f64 v[6:7], v[37:38], v[8:9]
	v_add_f64 v[8:9], v[8:9], -v[37:38]
	v_add_f64 v[33:34], v[19:20], v[17:18]
	v_add_f64 v[41:42], v[35:36], -v[10:11]
	ds_write2_b64 v27, v[25:26], v[6:7] offset1:7
	ds_write2_b64 v27, v[33:34], v[41:42] offset0:14 offset1:21
	v_add_f64 v[6:7], v[55:56], -v[39:40]
	v_add_f64 v[25:26], v[21:22], v[43:44]
	v_add_f64 v[10:11], v[10:11], v[35:36]
	v_add_f64 v[33:34], v[0:1], -v[21:22]
	v_add_f64 v[35:36], v[12:13], -v[23:24]
	;; [unrolled: 1-line block ×4, first 2 shown]
	v_add_f64 v[21:22], v[12:13], v[23:24]
	v_add_f64 v[12:13], v[6:7], -v[12:13]
	v_add_f64 v[39:40], v[4:5], v[25:26]
	v_add_f64 v[4:5], v[23:24], -v[6:7]
	v_mul_f64 v[23:24], v[33:34], s[10:11]
	v_mul_f64 v[33:34], v[35:36], s[14:15]
	v_add_f64 v[0:1], v[2:3], -v[0:1]
	v_mul_f64 v[2:3], v[19:20], s[4:5]
	v_add_f64 v[6:7], v[21:22], v[6:7]
	ds_write2_b64 v27, v[10:11], v[17:18] offset0:28 offset1:35
	ds_write_b64 v27, v[8:9] offset:336
	v_fma_f64 v[21:22], v[25:26], s[20:21], v[39:40]
	v_mul_f64 v[25:26], v[4:5], s[18:19]
	v_fma_f64 v[19:20], v[19:20], s[4:5], v[23:24]
	v_fma_f64 v[35:36], v[12:13], s[24:25], v[33:34]
	v_fma_f64 v[4:5], v[4:5], s[18:19], -v[33:34]
	v_fma_f64 v[2:3], v[0:1], s[0:1], -v[2:3]
	;; [unrolled: 1-line block ×3, first 2 shown]
	s_waitcnt lgkmcnt(0)
	s_barrier
	v_fma_f64 v[8:9], v[12:13], s[22:23], -v[25:26]
	v_add_f64 v[17:18], v[19:20], v[21:22]
	v_fma_f64 v[19:20], v[6:7], s[16:17], v[35:36]
	v_fma_f64 v[4:5], v[6:7], s[16:17], v[4:5]
	v_add_f64 v[23:24], v[2:3], v[21:22]
	v_add_f64 v[21:22], v[0:1], v[21:22]
	v_fma_f64 v[6:7], v[6:7], s[16:17], v[8:9]
	ds_read_b64 v[12:13], v14
	ds_read2_b64 v[0:3], v15 offset0:49 offset1:98
	ds_read2_b64 v[8:11], v15 offset0:147 offset1:196
	v_add_f64 v[25:26], v[17:18], -v[19:20]
	v_add_f64 v[17:18], v[19:20], v[17:18]
	v_add_f64 v[33:34], v[4:5], v[23:24]
	v_add_f64 v[23:24], v[23:24], -v[4:5]
	v_add_f64 v[35:36], v[21:22], -v[6:7]
	v_add_f64 v[21:22], v[6:7], v[21:22]
	ds_read2_b64 v[4:7], v16 offset0:117 offset1:166
	s_waitcnt lgkmcnt(0)
	s_barrier
	ds_write2_b64 v27, v[39:40], v[25:26] offset1:7
	ds_write2_b64 v27, v[35:36], v[33:34] offset0:14 offset1:21
	ds_write2_b64 v27, v[23:24], v[21:22] offset0:28 offset1:35
	ds_write_b64 v27, v[17:18] offset:336
	s_waitcnt lgkmcnt(0)
	s_barrier
	s_and_saveexec_b64 s[26:27], vcc
	s_cbranch_execz .LBB0_12
; %bb.11:
	v_mul_u32_u24_e32 v17, 6, v32
	v_lshlrev_b32_e32 v25, 4, v17
	global_load_dwordx4 v[17:20], v25, s[8:9] offset:704
	global_load_dwordx4 v[21:24], v25, s[8:9] offset:720
	;; [unrolled: 1-line block ×6, first 2 shown]
	ds_read2_b64 v[48:51], v15 offset0:147 offset1:196
	ds_read2_b64 v[52:55], v15 offset0:49 offset1:98
	;; [unrolled: 1-line block ×3, first 2 shown]
	ds_read_b64 v[14:15], v14
	v_add_u32_e32 v27, 49, v31
	v_add_co_u32_e32 v60, vcc, s12, v28
	v_add_u32_e32 v62, 0x93, v31
	s_waitcnt vmcnt(5)
	v_mul_f64 v[25:26], v[8:9], v[17:18]
	v_mul_f64 v[8:9], v[8:9], v[19:20]
	s_waitcnt lgkmcnt(3)
	v_fma_f64 v[19:20], v[48:49], v[19:20], v[25:26]
	s_waitcnt vmcnt(4)
	v_mul_f64 v[25:26], v[10:11], v[21:22]
	v_mul_f64 v[10:11], v[10:11], v[23:24]
	v_fma_f64 v[8:9], v[48:49], v[17:18], -v[8:9]
	v_mad_u64_u32 v[16:17], s[8:9], s2, v31, 0
	v_mov_b32_e32 v18, s13
	v_addc_co_u32_e32 v61, vcc, v18, v29, vcc
	v_add_u32_e32 v29, 0x62, v31
	v_fma_f64 v[10:11], v[50:51], v[21:22], -v[10:11]
	v_mad_u64_u32 v[21:22], s[8:9], s2, v27, 0
	v_fma_f64 v[23:24], v[50:51], v[23:24], v[25:26]
	v_mad_u64_u32 v[25:26], s[8:9], s2, v29, 0
	v_mad_u64_u32 v[17:18], s[8:9], s3, v31, v[17:18]
	v_mov_b32_e32 v18, v22
	v_mad_u64_u32 v[27:28], s[8:9], s3, v27, v[18:19]
	v_mov_b32_e32 v18, v26
	v_mad_u64_u32 v[28:29], s[8:9], s3, v29, v[18:19]
	s_waitcnt vmcnt(3)
	v_mul_f64 v[29:30], v[2:3], v[32:33]
	v_mul_f64 v[2:3], v[2:3], v[34:35]
	v_mov_b32_e32 v22, v27
	v_mov_b32_e32 v26, v28
	s_waitcnt vmcnt(2)
	v_mul_f64 v[27:28], v[4:5], v[36:37]
	v_mul_f64 v[4:5], v[4:5], v[38:39]
	v_lshlrev_b64 v[16:17], 4, v[16:17]
	v_lshlrev_b64 v[21:22], 4, v[21:22]
	s_waitcnt lgkmcnt(2)
	v_fma_f64 v[29:30], v[54:55], v[34:35], v[29:30]
	v_fma_f64 v[2:3], v[54:55], v[32:33], -v[2:3]
	s_waitcnt vmcnt(1)
	v_mul_f64 v[32:33], v[0:1], v[40:41]
	s_waitcnt vmcnt(0)
	v_mul_f64 v[34:35], v[6:7], v[44:45]
	v_mul_f64 v[0:1], v[0:1], v[42:43]
	;; [unrolled: 1-line block ×3, first 2 shown]
	s_waitcnt lgkmcnt(1)
	v_fma_f64 v[27:28], v[56:57], v[38:39], v[27:28]
	v_fma_f64 v[4:5], v[56:57], v[36:37], -v[4:5]
	v_add_co_u32_e32 v16, vcc, v60, v16
	v_fma_f64 v[32:33], v[52:53], v[42:43], v[32:33]
	v_fma_f64 v[34:35], v[58:59], v[46:47], v[34:35]
	v_fma_f64 v[0:1], v[52:53], v[40:41], -v[0:1]
	v_fma_f64 v[6:7], v[58:59], v[44:45], -v[6:7]
	v_addc_co_u32_e32 v17, vcc, v61, v17, vcc
	v_add_co_u32_e32 v36, vcc, v60, v21
	v_addc_co_u32_e32 v37, vcc, v61, v22, vcc
	v_add_f64 v[21:22], v[23:24], -v[19:20]
	v_add_f64 v[38:39], v[29:30], -v[27:28]
	v_add_f64 v[44:45], v[2:3], v[4:5]
	v_add_f64 v[46:47], v[0:1], v[6:7]
	;; [unrolled: 1-line block ×5, first 2 shown]
	v_add_f64 v[40:41], v[32:33], -v[34:35]
	v_add_f64 v[42:43], v[10:11], v[8:9]
	v_add_f64 v[8:9], v[10:11], -v[8:9]
	v_add_f64 v[2:3], v[2:3], -v[4:5]
	v_add_f64 v[0:1], v[0:1], -v[6:7]
	v_add_f64 v[32:33], v[44:45], v[46:47]
	v_add_f64 v[4:5], v[21:22], v[38:39]
	;; [unrolled: 1-line block ×3, first 2 shown]
	v_add_f64 v[6:7], v[21:22], -v[38:39]
	v_add_f64 v[10:11], v[40:41], -v[21:22]
	;; [unrolled: 1-line block ×5, first 2 shown]
	v_add_f64 v[52:53], v[8:9], v[2:3]
	v_add_f64 v[54:55], v[8:9], -v[2:3]
	v_add_f64 v[38:39], v[38:39], -v[40:41]
	;; [unrolled: 1-line block ×4, first 2 shown]
	v_add_f64 v[32:33], v[42:43], v[32:33]
	v_add_f64 v[18:19], v[18:19], v[50:51]
	v_add_f64 v[20:21], v[42:43], -v[44:45]
	v_add_f64 v[8:9], v[0:1], -v[8:9]
	;; [unrolled: 1-line block ×3, first 2 shown]
	v_mul_f64 v[6:7], v[6:7], s[14:15]
	v_mul_f64 v[29:30], v[29:30], s[10:11]
	;; [unrolled: 1-line block ×3, first 2 shown]
	v_add_f64 v[48:49], v[52:53], v[0:1]
	v_mul_f64 v[50:51], v[54:55], s[14:15]
	v_mul_f64 v[52:53], v[38:39], s[18:19]
	;; [unrolled: 1-line block ×3, first 2 shown]
	s_waitcnt lgkmcnt(0)
	v_add_f64 v[2:3], v[14:15], v[32:33]
	v_add_f64 v[0:1], v[12:13], v[18:19]
	;; [unrolled: 1-line block ×3, first 2 shown]
	v_mul_f64 v[40:41], v[20:21], s[4:5]
	v_mul_f64 v[42:43], v[34:35], s[4:5]
	v_fma_f64 v[56:57], v[10:11], s[24:25], v[6:7]
	v_fma_f64 v[20:21], v[20:21], s[4:5], v[29:30]
	;; [unrolled: 1-line block ×4, first 2 shown]
	v_fma_f64 v[10:11], v[10:11], s[22:23], -v[52:53]
	v_fma_f64 v[8:9], v[8:9], s[22:23], -v[54:55]
	;; [unrolled: 1-line block ×3, first 2 shown]
	v_fma_f64 v[32:33], v[32:33], s[20:21], v[2:3]
	v_fma_f64 v[18:19], v[18:19], s[20:21], v[0:1]
	v_fma_f64 v[29:30], v[44:45], s[6:7], -v[29:30]
	v_fma_f64 v[34:35], v[22:23], s[6:7], -v[46:47]
	;; [unrolled: 1-line block ×4, first 2 shown]
	v_fma_f64 v[38:39], v[4:5], s[16:17], v[56:57]
	v_fma_f64 v[12:13], v[48:49], s[16:17], v[12:13]
	;; [unrolled: 1-line block ×5, first 2 shown]
	v_add_f64 v[4:5], v[20:21], v[32:33]
	v_add_f64 v[8:9], v[14:15], v[18:19]
	v_fma_f64 v[27:28], v[27:28], s[18:19], -v[50:51]
	global_store_dwordx4 v[16:17], v[0:3], off
	v_add_f64 v[20:21], v[29:30], v[32:33]
	v_add_f64 v[29:30], v[34:35], v[18:19]
	;; [unrolled: 1-line block ×4, first 2 shown]
	v_add_f64 v[10:11], v[4:5], -v[38:39]
	v_add_f64 v[0:1], v[8:9], -v[12:13]
	v_add_f64 v[8:9], v[12:13], v[8:9]
	v_fma_f64 v[27:28], v[48:49], s[16:17], v[27:28]
	v_lshlrev_b64 v[25:26], 4, v[25:26]
	v_add_f64 v[6:7], v[42:43], v[20:21]
	v_add_f64 v[14:15], v[16:17], -v[46:47]
	v_add_f64 v[18:19], v[46:47], v[16:17]
	v_add_f64 v[2:3], v[38:39], v[4:5]
	v_add_f64 v[4:5], v[29:30], -v[44:45]
	global_store_dwordx4 v[36:37], v[8:11], off
	v_add_f64 v[12:13], v[27:28], v[22:23]
	v_mad_u64_u32 v[8:9], s[0:1], s2, v62, 0
	v_add_f64 v[16:17], v[22:23], -v[27:28]
	v_add_f64 v[22:23], v[20:21], -v[42:43]
	v_add_f64 v[20:21], v[44:45], v[29:30]
	v_add_co_u32_e32 v10, vcc, v60, v25
	v_mad_u64_u32 v[24:25], s[0:1], s3, v62, v[9:10]
	v_add_u32_e32 v27, 0xc4, v31
	v_addc_co_u32_e32 v11, vcc, v61, v26, vcc
	v_mad_u64_u32 v[25:26], s[0:1], s2, v27, 0
	v_mov_b32_e32 v9, v24
	global_store_dwordx4 v[10:11], v[20:23], off
	v_lshlrev_b64 v[8:9], 4, v[8:9]
	v_mov_b32_e32 v10, v26
	v_mad_u64_u32 v[10:11], s[0:1], s3, v27, v[10:11]
	v_add_co_u32_e32 v8, vcc, v60, v8
	v_addc_co_u32_e32 v9, vcc, v61, v9, vcc
	global_store_dwordx4 v[8:9], v[16:19], off
	v_mov_b32_e32 v26, v10
	v_add_u32_e32 v16, 0xf5, v31
	v_mad_u64_u32 v[10:11], s[0:1], s2, v16, 0
	v_add_u32_e32 v19, 0x126, v31
	v_lshlrev_b64 v[8:9], 4, v[25:26]
	v_mad_u64_u32 v[16:17], s[0:1], s3, v16, v[11:12]
	v_mad_u64_u32 v[17:18], s[0:1], s2, v19, 0
	v_add_co_u32_e32 v8, vcc, v60, v8
	v_addc_co_u32_e32 v9, vcc, v61, v9, vcc
	v_mov_b32_e32 v11, v16
	global_store_dwordx4 v[8:9], v[12:15], off
	v_lshlrev_b64 v[8:9], 4, v[10:11]
	v_mov_b32_e32 v10, v18
	v_mad_u64_u32 v[10:11], s[0:1], s3, v19, v[10:11]
	v_add_co_u32_e32 v8, vcc, v60, v8
	v_addc_co_u32_e32 v9, vcc, v61, v9, vcc
	v_mov_b32_e32 v18, v10
	global_store_dwordx4 v[8:9], v[4:7], off
	s_nop 0
	v_lshlrev_b64 v[4:5], 4, v[17:18]
	v_add_co_u32_e32 v4, vcc, v60, v4
	v_addc_co_u32_e32 v5, vcc, v61, v5, vcc
	global_store_dwordx4 v[4:5], v[0:3], off
.LBB0_12:
	s_endpgm
	.section	.rodata,"a",@progbits
	.p2align	6, 0x0
	.amdhsa_kernel fft_rtc_back_len343_factors_7_7_7_wgs_245_tpt_49_halfLds_dp_ip_CI_sbrr_dirReg
		.amdhsa_group_segment_fixed_size 0
		.amdhsa_private_segment_fixed_size 0
		.amdhsa_kernarg_size 88
		.amdhsa_user_sgpr_count 6
		.amdhsa_user_sgpr_private_segment_buffer 1
		.amdhsa_user_sgpr_dispatch_ptr 0
		.amdhsa_user_sgpr_queue_ptr 0
		.amdhsa_user_sgpr_kernarg_segment_ptr 1
		.amdhsa_user_sgpr_dispatch_id 0
		.amdhsa_user_sgpr_flat_scratch_init 0
		.amdhsa_user_sgpr_private_segment_size 0
		.amdhsa_uses_dynamic_stack 0
		.amdhsa_system_sgpr_private_segment_wavefront_offset 0
		.amdhsa_system_sgpr_workgroup_id_x 1
		.amdhsa_system_sgpr_workgroup_id_y 0
		.amdhsa_system_sgpr_workgroup_id_z 0
		.amdhsa_system_sgpr_workgroup_info 0
		.amdhsa_system_vgpr_workitem_id 0
		.amdhsa_next_free_vgpr 63
		.amdhsa_next_free_sgpr 28
		.amdhsa_reserve_vcc 1
		.amdhsa_reserve_flat_scratch 0
		.amdhsa_float_round_mode_32 0
		.amdhsa_float_round_mode_16_64 0
		.amdhsa_float_denorm_mode_32 3
		.amdhsa_float_denorm_mode_16_64 3
		.amdhsa_dx10_clamp 1
		.amdhsa_ieee_mode 1
		.amdhsa_fp16_overflow 0
		.amdhsa_exception_fp_ieee_invalid_op 0
		.amdhsa_exception_fp_denorm_src 0
		.amdhsa_exception_fp_ieee_div_zero 0
		.amdhsa_exception_fp_ieee_overflow 0
		.amdhsa_exception_fp_ieee_underflow 0
		.amdhsa_exception_fp_ieee_inexact 0
		.amdhsa_exception_int_div_zero 0
	.end_amdhsa_kernel
	.text
.Lfunc_end0:
	.size	fft_rtc_back_len343_factors_7_7_7_wgs_245_tpt_49_halfLds_dp_ip_CI_sbrr_dirReg, .Lfunc_end0-fft_rtc_back_len343_factors_7_7_7_wgs_245_tpt_49_halfLds_dp_ip_CI_sbrr_dirReg
                                        ; -- End function
	.section	.AMDGPU.csdata,"",@progbits
; Kernel info:
; codeLenInByte = 5100
; NumSgprs: 32
; NumVgprs: 63
; ScratchSize: 0
; MemoryBound: 1
; FloatMode: 240
; IeeeMode: 1
; LDSByteSize: 0 bytes/workgroup (compile time only)
; SGPRBlocks: 3
; VGPRBlocks: 15
; NumSGPRsForWavesPerEU: 32
; NumVGPRsForWavesPerEU: 63
; Occupancy: 4
; WaveLimiterHint : 1
; COMPUTE_PGM_RSRC2:SCRATCH_EN: 0
; COMPUTE_PGM_RSRC2:USER_SGPR: 6
; COMPUTE_PGM_RSRC2:TRAP_HANDLER: 0
; COMPUTE_PGM_RSRC2:TGID_X_EN: 1
; COMPUTE_PGM_RSRC2:TGID_Y_EN: 0
; COMPUTE_PGM_RSRC2:TGID_Z_EN: 0
; COMPUTE_PGM_RSRC2:TIDIG_COMP_CNT: 0
	.type	__hip_cuid_6f48bfe8694af9f9,@object ; @__hip_cuid_6f48bfe8694af9f9
	.section	.bss,"aw",@nobits
	.globl	__hip_cuid_6f48bfe8694af9f9
__hip_cuid_6f48bfe8694af9f9:
	.byte	0                               ; 0x0
	.size	__hip_cuid_6f48bfe8694af9f9, 1

	.ident	"AMD clang version 19.0.0git (https://github.com/RadeonOpenCompute/llvm-project roc-6.4.0 25133 c7fe45cf4b819c5991fe208aaa96edf142730f1d)"
	.section	".note.GNU-stack","",@progbits
	.addrsig
	.addrsig_sym __hip_cuid_6f48bfe8694af9f9
	.amdgpu_metadata
---
amdhsa.kernels:
  - .args:
      - .actual_access:  read_only
        .address_space:  global
        .offset:         0
        .size:           8
        .value_kind:     global_buffer
      - .offset:         8
        .size:           8
        .value_kind:     by_value
      - .actual_access:  read_only
        .address_space:  global
        .offset:         16
        .size:           8
        .value_kind:     global_buffer
      - .actual_access:  read_only
        .address_space:  global
        .offset:         24
        .size:           8
        .value_kind:     global_buffer
      - .offset:         32
        .size:           8
        .value_kind:     by_value
      - .actual_access:  read_only
        .address_space:  global
        .offset:         40
        .size:           8
        .value_kind:     global_buffer
      - .actual_access:  read_only
        .address_space:  global
        .offset:         48
        .size:           8
        .value_kind:     global_buffer
      - .offset:         56
        .size:           4
        .value_kind:     by_value
      - .actual_access:  read_only
        .address_space:  global
        .offset:         64
        .size:           8
        .value_kind:     global_buffer
      - .actual_access:  read_only
        .address_space:  global
        .offset:         72
        .size:           8
        .value_kind:     global_buffer
      - .address_space:  global
        .offset:         80
        .size:           8
        .value_kind:     global_buffer
    .group_segment_fixed_size: 0
    .kernarg_segment_align: 8
    .kernarg_segment_size: 88
    .language:       OpenCL C
    .language_version:
      - 2
      - 0
    .max_flat_workgroup_size: 245
    .name:           fft_rtc_back_len343_factors_7_7_7_wgs_245_tpt_49_halfLds_dp_ip_CI_sbrr_dirReg
    .private_segment_fixed_size: 0
    .sgpr_count:     32
    .sgpr_spill_count: 0
    .symbol:         fft_rtc_back_len343_factors_7_7_7_wgs_245_tpt_49_halfLds_dp_ip_CI_sbrr_dirReg.kd
    .uniform_work_group_size: 1
    .uses_dynamic_stack: false
    .vgpr_count:     63
    .vgpr_spill_count: 0
    .wavefront_size: 64
amdhsa.target:   amdgcn-amd-amdhsa--gfx906
amdhsa.version:
  - 1
  - 2
...

	.end_amdgpu_metadata
